;; amdgpu-corpus repo=ROCm/rocFFT kind=compiled arch=gfx950 opt=O3
	.text
	.amdgcn_target "amdgcn-amd-amdhsa--gfx950"
	.amdhsa_code_object_version 6
	.protected	fft_rtc_back_len121_factors_11_11_wgs_121_tpt_11_half_op_CI_CI_sbrc_xy_z_aligned_dirReg ; -- Begin function fft_rtc_back_len121_factors_11_11_wgs_121_tpt_11_half_op_CI_CI_sbrc_xy_z_aligned_dirReg
	.globl	fft_rtc_back_len121_factors_11_11_wgs_121_tpt_11_half_op_CI_CI_sbrc_xy_z_aligned_dirReg
	.p2align	8
	.type	fft_rtc_back_len121_factors_11_11_wgs_121_tpt_11_half_op_CI_CI_sbrc_xy_z_aligned_dirReg,@function
fft_rtc_back_len121_factors_11_11_wgs_121_tpt_11_half_op_CI_CI_sbrc_xy_z_aligned_dirReg: ; @fft_rtc_back_len121_factors_11_11_wgs_121_tpt_11_half_op_CI_CI_sbrc_xy_z_aligned_dirReg
; %bb.0:
	s_load_dwordx4 s[12:15], s[0:1], 0x10
	s_mov_b32 s3, 0
	s_mov_b32 s31, s3
	s_mov_b64 s[28:29], 0
	s_waitcnt lgkmcnt(0)
	s_load_dwordx4 s[20:23], s[12:13], 0x8
	s_load_dwordx2 s[24:25], s[0:1], 0x0
	s_load_dwordx4 s[8:11], s[0:1], 0x58
	s_load_dwordx2 s[26:27], s[0:1], 0x20
	s_waitcnt lgkmcnt(0)
	s_add_i32 s4, s22, -1
	s_mul_hi_u32 s4, s4, 0xba2e8ba3
	s_lshr_b32 s4, s4, 3
	s_add_i32 s4, s4, 1
	s_mul_i32 s30, s4, s20
	v_cvt_f32_u32_e32 v1, s30
	s_load_dwordx4 s[16:19], s[14:15], 0x0
	s_load_dwordx2 s[22:23], s[14:15], 0x10
	s_load_dwordx4 s[4:7], s[26:27], 0x0
	s_load_dwordx2 s[12:13], s[26:27], 0x10
	s_waitcnt lgkmcnt(0)
	s_sub_i32 s7, 0, s30
	v_rcp_iflag_f32_e32 v1, v1
	v_mov_b64_e32 v[2:3], s[20:21]
	v_mul_f32_e32 v1, 0x4f7ffffe, v1
	v_cvt_u32_f32_e32 v1, v1
	s_nop 0
	v_readfirstlane_b32 s13, v1
	s_mul_i32 s7, s7, s13
	s_mul_hi_u32 s7, s13, s7
	s_add_i32 s13, s13, s7
	s_mul_hi_u32 s7, s2, s13
	s_mul_i32 s13, s7, s30
	s_sub_i32 s13, s2, s13
	s_add_i32 s19, s7, 1
	s_sub_i32 s23, s13, s30
	s_cmp_ge_u32 s13, s30
	s_cselect_b32 s7, s19, s7
	s_cselect_b32 s13, s23, s13
	s_add_i32 s19, s7, 1
	s_cmp_ge_u32 s13, s30
	s_cselect_b32 s23, s19, s7
	s_mul_i32 s7, s23, s30
	v_cvt_f32_u32_e32 v1, s20
	s_sub_i32 s30, s2, s7
	v_cmp_lt_u64_e32 vcc, s[30:31], v[2:3]
	s_cbranch_vccnz .LBB0_2
; %bb.1:
	v_rcp_iflag_f32_e32 v2, v1
	s_sub_i32 s7, 0, s20
	v_mul_f32_e32 v2, 0x4f7ffffe, v2
	v_cvt_u32_f32_e32 v2, v2
	s_nop 0
	v_readfirstlane_b32 s13, v2
	s_mul_i32 s7, s7, s13
	s_mul_hi_u32 s7, s13, s7
	s_add_i32 s13, s13, s7
	s_mul_hi_u32 s7, s30, s13
	s_mul_i32 s19, s7, s20
	s_sub_i32 s19, s30, s19
	s_add_i32 s13, s7, 1
	s_sub_i32 s28, s19, s20
	s_cmp_ge_u32 s19, s20
	s_cselect_b32 s7, s13, s7
	s_cselect_b32 s19, s28, s19
	s_add_i32 s13, s7, 1
	s_cmp_ge_u32 s19, s20
	s_cselect_b32 s28, s13, s7
.LBB0_2:
	v_mov_b64_e32 v[2:3], s[20:21]
	v_cmp_lt_u64_e32 vcc, s[2:3], v[2:3]
	s_cbranch_vccnz .LBB0_4
; %bb.3:
	v_rcp_iflag_f32_e32 v1, v1
	s_sub_i32 s3, 0, s20
	v_mul_f32_e32 v1, 0x4f7ffffe, v1
	v_cvt_u32_f32_e32 v1, v1
	s_nop 0
	v_readfirstlane_b32 s7, v1
	s_mul_i32 s3, s3, s7
	s_mul_hi_u32 s3, s7, s3
	s_add_i32 s7, s7, s3
	s_mul_hi_u32 s3, s2, s7
	s_mul_i32 s3, s3, s20
	s_sub_i32 s2, s2, s3
	s_sub_i32 s3, s2, s20
	s_cmp_ge_u32 s2, s20
	s_cselect_b32 s2, s3, s2
	s_sub_i32 s3, s2, s20
	s_cmp_ge_u32 s2, s20
	s_cselect_b32 s2, s3, s2
.LBB0_4:
	s_load_dwordx2 s[20:21], s[0:1], 0x8
	s_mul_i32 s0, s28, 11
	s_mul_i32 s1, s2, s18
	;; [unrolled: 1-line block ×3, first 2 shown]
	s_add_i32 s18, s1, s3
	s_waitcnt lgkmcnt(0)
	s_lshl_b64 s[20:21], s[20:21], 3
	s_add_u32 s14, s14, s20
	s_addc_u32 s15, s15, s21
	s_load_dwordx2 s[28:29], s[14:15], 0x0
	v_mul_u32_u24_e32 v1, 0x21e, v0
	v_lshrrev_b32_e32 v22, 16, v1
	v_mul_lo_u16_e32 v1, 0x79, v22
	v_sub_u16_e32 v1, v0, v1
	s_waitcnt lgkmcnt(0)
	s_mul_i32 s1, s29, s23
	s_mul_hi_u32 s3, s28, s23
	s_add_i32 s29, s3, s1
	s_add_u32 s14, s26, s20
	s_addc_u32 s15, s27, s21
	s_load_dwordx2 s[14:15], s[14:15], 0x0
	v_mad_u64_u32 v[4:5], s[20:21], s16, v1, 0
	v_mov_b32_e32 v2, v5
	s_mul_i32 s28, s28, s23
	s_waitcnt lgkmcnt(0)
	s_mul_i32 s1, s15, s23
	s_mul_hi_u32 s3, s14, s23
	v_mad_u64_u32 v[2:3], s[16:17], s17, v1, v[2:3]
	s_add_i32 s3, s3, s1
	s_lshl_b64 s[16:17], s[28:29], 2
	s_mov_b32 s19, 0
	s_add_u32 s1, s8, s16
	s_addc_u32 s7, s9, s17
	s_lshl_b64 s[8:9], s[18:19], 2
	s_add_u32 s8, s1, s8
	v_mov_b32_e32 v5, v2
	s_addc_u32 s9, s7, s9
	v_mul_lo_u32 v2, s22, v22
	v_mov_b32_e32 v3, 0
	v_lshl_add_u64 v[4:5], v[4:5], 2, s[8:9]
	v_lshl_add_u64 v[6:7], v[2:3], 2, v[4:5]
	v_add_u32_e32 v2, s22, v2
	v_lshl_add_u64 v[8:9], v[2:3], 2, v[4:5]
	v_add_u32_e32 v2, s22, v2
	;; [unrolled: 2-line block ×8, first 2 shown]
	global_load_dword v23, v[6:7], off
	global_load_dword v24, v[8:9], off
	;; [unrolled: 1-line block ×8, first 2 shown]
	v_lshl_add_u64 v[6:7], v[2:3], 2, v[4:5]
	v_add_u32_e32 v2, s22, v2
	v_lshl_add_u64 v[8:9], v[2:3], 2, v[4:5]
	v_add_u32_e32 v2, s22, v2
	v_lshl_add_u64 v[4:5], v[2:3], 2, v[4:5]
	global_load_dword v2, v[6:7], off
	global_load_dword v10, v[8:9], off
	global_load_dword v11, v[4:5], off
	v_mul_u32_u24_e32 v5, 0x1746, v0
	v_mov_b32_e32 v16, 11
	s_mov_b32 s1, 0xffff
	v_mul_lo_u16_sdwa v4, v5, v16 dst_sel:DWORD dst_unused:UNUSED_PAD src0_sel:WORD_1 src1_sel:DWORD
	v_bfi_b32 v7, s1, v1, v5
	v_sub_u16_e32 v4, v0, v4
	v_pk_mul_lo_u16 v7, v7, 44 op_sel_hi:[1,0]
	v_lshlrev_b32_e32 v6, 2, v22
	v_lshlrev_b32_e32 v17, 2, v4
	v_and_b32_e32 v8, 0xfffc, v7
	v_lshrrev_b32_e32 v7, 16, v7
	v_add3_u32 v6, 0, v8, v6
	v_add3_u32 v31, 0, v7, v17
	v_add_u32_e32 v18, 0x200, v31
	v_add_u32_e32 v22, 0x600, v31
	;; [unrolled: 1-line block ×4, first 2 shown]
	s_mov_b32 s7, 0xb853
	s_movk_i32 s13, 0x3abb
	s_movk_i32 s15, 0x3853
	s_mov_b32 s17, 0xbb47
	s_movk_i32 s18, 0x36a6
	s_movk_i32 s20, 0x3b47
	s_mov_b32 s16, 0xbbeb
	s_mov_b32 s21, 0xb08e
	s_movk_i32 s22, 0x3beb
	s_mov_b32 s26, 0xba0c
	s_mov_b32 s27, 0xb93d
	s_movk_i32 s28, 0x3a0c
	s_mov_b32 s29, 0xb482
	s_mov_b32 s30, 0xbbad
	s_movk_i32 s31, 0x3482
	s_movk_i32 s1, 0x1e4
	s_mul_i32 s8, s2, s12
	s_mul_i32 s2, s14, s23
	s_mov_b32 s9, s19
	v_sub_u32_e32 v0, v0, v1
	s_waitcnt vmcnt(9)
	ds_write2_b32 v6, v23, v24 offset1:1
	s_waitcnt vmcnt(7)
	ds_write2_b32 v6, v25, v26 offset0:2 offset1:3
	s_waitcnt vmcnt(5)
	ds_write2_b32 v6, v27, v28 offset0:4 offset1:5
	s_waitcnt vmcnt(3)
	ds_write2_b32 v6, v29, v30 offset0:6 offset1:7
	s_waitcnt vmcnt(1)
	ds_write2_b32 v6, v2, v10 offset0:8 offset1:9
	s_waitcnt vmcnt(0)
	ds_write_b32 v6, v11 offset:40
	s_waitcnt lgkmcnt(0)
	s_barrier
	ds_read2_b32 v[6:7], v31 offset1:121
	ds_read2_b32 v[8:9], v18 offset0:114 offset1:235
	ds_read2_b32 v[10:11], v22 offset0:100 offset1:221
	ds_read_b32 v2, v31 offset:4840
	ds_read2_b32 v[12:13], v20 offset0:86 offset1:207
	ds_read2_b32 v[14:15], v32 offset0:72 offset1:193
	s_waitcnt lgkmcnt(5)
	v_add_f16_e32 v19, v7, v6
	v_add_f16_sdwa v21, v7, v6 dst_sel:DWORD dst_unused:UNUSED_PAD src0_sel:WORD_1 src1_sel:WORD_1
	s_waitcnt lgkmcnt(4)
	v_add_f16_e32 v19, v19, v8
	v_add_f16_sdwa v21, v21, v8 dst_sel:DWORD dst_unused:UNUSED_PAD src0_sel:DWORD src1_sel:WORD_1
	v_add_f16_e32 v19, v19, v9
	v_add_f16_sdwa v21, v21, v9 dst_sel:DWORD dst_unused:UNUSED_PAD src0_sel:DWORD src1_sel:WORD_1
	s_waitcnt lgkmcnt(3)
	v_add_f16_e32 v19, v19, v10
	v_add_f16_sdwa v21, v21, v10 dst_sel:DWORD dst_unused:UNUSED_PAD src0_sel:DWORD src1_sel:WORD_1
	v_add_f16_e32 v19, v19, v11
	v_add_f16_sdwa v21, v21, v11 dst_sel:DWORD dst_unused:UNUSED_PAD src0_sel:DWORD src1_sel:WORD_1
	;; [unrolled: 5-line block ×3, first 2 shown]
	v_add_f16_e32 v23, v2, v7
	v_add_f16_sdwa v24, v2, v7 dst_sel:DWORD dst_unused:UNUSED_PAD src0_sel:WORD_1 src1_sel:WORD_1
	v_sub_f16_e32 v25, v7, v2
	v_sub_f16_sdwa v7, v7, v2 dst_sel:DWORD dst_unused:UNUSED_PAD src0_sel:WORD_1 src1_sel:WORD_1
	s_waitcnt lgkmcnt(0)
	v_add_f16_e32 v19, v19, v14
	v_add_f16_sdwa v21, v21, v14 dst_sel:DWORD dst_unused:UNUSED_PAD src0_sel:DWORD src1_sel:WORD_1
	v_mul_f16_e32 v26, 0xb853, v7
	v_mul_f16_e32 v27, 0x3abb, v24
	v_add_f16_e32 v19, v19, v15
	v_add_f16_sdwa v21, v21, v15 dst_sel:DWORD dst_unused:UNUSED_PAD src0_sel:DWORD src1_sel:WORD_1
	v_fma_f16 v28, v23, s13, v26
	v_fma_f16 v29, v25, s15, v27
	v_add_f16_e32 v19, v19, v2
	v_add_f16_sdwa v2, v21, v2 dst_sel:WORD_1 dst_unused:UNUSED_PAD src0_sel:DWORD src1_sel:WORD_1
	v_fma_f16 v21, v23, s13, -v26
	v_fma_f16 v26, v25, s7, v27
	v_mul_f16_e32 v27, 0xbb47, v7
	v_mul_f16_e32 v30, 0x36a6, v24
	;; [unrolled: 1-line block ×8, first 2 shown]
	v_or_b32_e32 v2, v2, v19
	v_add_f16_sdwa v19, v29, v6 dst_sel:DWORD dst_unused:UNUSED_PAD src0_sel:DWORD src1_sel:WORD_1
	v_fma_f16 v29, v23, s18, v27
	v_fma_f16 v33, v25, s20, v30
	v_fma_f16 v27, v23, s18, -v27
	v_fma_f16 v30, v25, s17, v30
	v_fma_f16 v35, v23, s21, v34
	v_fma_f16 v37, v25, s22, v36
	v_fma_f16 v34, v23, s21, -v34
	v_fma_f16 v36, v25, s16, v36
	;; [unrolled: 4-line block ×4, first 2 shown]
	v_add_f16_e32 v28, v28, v6
	v_add_f16_e32 v21, v21, v6
	v_add_f16_sdwa v26, v26, v6 dst_sel:DWORD dst_unused:UNUSED_PAD src0_sel:DWORD src1_sel:WORD_1
	v_add_f16_e32 v29, v29, v6
	v_add_f16_sdwa v33, v33, v6 dst_sel:DWORD dst_unused:UNUSED_PAD src0_sel:DWORD src1_sel:WORD_1
	;; [unrolled: 2-line block ×9, first 2 shown]
	v_add_f16_e32 v23, v15, v8
	v_add_f16_sdwa v24, v15, v8 dst_sel:DWORD dst_unused:UNUSED_PAD src0_sel:WORD_1 src1_sel:WORD_1
	v_sub_f16_e32 v25, v8, v15
	v_sub_f16_sdwa v8, v8, v15 dst_sel:DWORD dst_unused:UNUSED_PAD src0_sel:WORD_1 src1_sel:WORD_1
	v_mul_f16_e32 v15, 0xbb47, v8
	v_fma_f16 v44, v23, s18, v15
	v_add_f16_e32 v28, v44, v28
	v_mul_f16_e32 v44, 0x36a6, v24
	v_fma_f16 v15, v23, s18, -v15
	v_add_f16_e32 v15, v15, v21
	v_fma_f16 v21, v25, s17, v44
	v_add_f16_e32 v21, v21, v26
	v_mul_f16_e32 v26, 0xba0c, v8
	v_fma_f16 v45, v25, s20, v44
	v_fma_f16 v44, v23, s27, v26
	v_add_f16_e32 v29, v44, v29
	v_mul_f16_e32 v44, 0xb93d, v24
	v_fma_f16 v26, v23, s27, -v26
	v_add_f16_e32 v26, v26, v27
	v_fma_f16 v27, v25, s26, v44
	v_add_f16_e32 v27, v27, v30
	v_mul_f16_e32 v30, 0x3482, v8
	v_add_f16_e32 v19, v45, v19
	v_fma_f16 v45, v25, s28, v44
	v_fma_f16 v44, v23, s30, v30
	v_add_f16_e32 v35, v44, v35
	v_mul_f16_e32 v44, 0xbbad, v24
	v_fma_f16 v30, v23, s30, -v30
	v_add_f16_e32 v30, v30, v34
	v_fma_f16 v34, v25, s31, v44
	v_add_f16_e32 v34, v34, v36
	v_mul_f16_e32 v36, 0x3beb, v8
	v_add_f16_e32 v33, v45, v33
	v_fma_f16 v45, v25, s29, v44
	v_fma_f16 v44, v23, s21, v36
	v_add_f16_e32 v39, v44, v39
	v_mul_f16_e32 v44, 0xb08e, v24
	v_fma_f16 v36, v23, s21, -v36
	v_add_f16_e32 v36, v36, v38
	v_fma_f16 v38, v25, s22, v44
	v_mul_f16_e32 v8, 0x3853, v8
	v_add_f16_e32 v38, v38, v40
	v_fma_f16 v40, v23, s13, v8
	v_mul_f16_e32 v24, 0x3abb, v24
	v_fma_f16 v8, v23, s13, -v8
	v_add_f16_e32 v7, v8, v7
	v_fma_f16 v8, v25, s15, v24
	v_add_f16_e32 v40, v40, v42
	v_fma_f16 v42, v25, s7, v24
	v_add_f16_e32 v6, v8, v6
	v_add_f16_e32 v8, v14, v9
	v_add_f16_sdwa v23, v14, v9 dst_sel:DWORD dst_unused:UNUSED_PAD src0_sel:WORD_1 src1_sel:WORD_1
	v_sub_f16_e32 v24, v9, v14
	v_sub_f16_sdwa v9, v9, v14 dst_sel:DWORD dst_unused:UNUSED_PAD src0_sel:WORD_1 src1_sel:WORD_1
	v_mul_f16_e32 v14, 0xbbeb, v9
	v_add_f16_e32 v37, v45, v37
	v_fma_f16 v45, v25, s16, v44
	v_fma_f16 v25, v8, s21, v14
	v_add_f16_e32 v25, v25, v28
	v_mul_f16_e32 v28, 0xb08e, v23
	v_fma_f16 v14, v8, s21, -v14
	v_add_f16_e32 v14, v14, v15
	v_fma_f16 v15, v24, s16, v28
	v_add_f16_e32 v15, v15, v21
	v_mul_f16_e32 v21, 0x3482, v9
	v_add_f16_e32 v42, v42, v43
	v_fma_f16 v43, v24, s22, v28
	v_fma_f16 v28, v8, s30, v21
	v_add_f16_e32 v28, v28, v29
	v_mul_f16_e32 v29, 0xbbad, v23
	v_fma_f16 v21, v8, s30, -v21
	v_add_f16_e32 v21, v21, v26
	v_fma_f16 v26, v24, s31, v29
	v_add_f16_e32 v26, v26, v27
	;; [unrolled: 10-line block ×3, first 2 shown]
	v_mul_f16_e32 v34, 0xb853, v9
	v_add_f16_e32 v33, v43, v33
	v_fma_f16 v43, v24, s17, v35
	v_fma_f16 v35, v8, s13, v34
	v_add_f16_e32 v35, v35, v39
	v_mul_f16_e32 v39, 0x3abb, v23
	v_fma_f16 v34, v8, s13, -v34
	v_add_f16_e32 v34, v34, v36
	v_fma_f16 v36, v24, s7, v39
	v_mul_f16_e32 v9, 0xba0c, v9
	v_add_f16_e32 v36, v36, v38
	v_fma_f16 v38, v8, s27, v9
	v_mul_f16_e32 v23, 0xb93d, v23
	v_fma_f16 v8, v8, s27, -v9
	v_add_f16_e32 v7, v8, v7
	v_fma_f16 v8, v24, s26, v23
	v_add_f16_e32 v37, v43, v37
	v_fma_f16 v43, v24, s15, v39
	v_fma_f16 v39, v24, s28, v23
	v_add_f16_e32 v6, v8, v6
	v_add_f16_e32 v8, v13, v10
	v_add_f16_sdwa v9, v13, v10 dst_sel:DWORD dst_unused:UNUSED_PAD src0_sel:WORD_1 src1_sel:WORD_1
	v_sub_f16_e32 v23, v10, v13
	v_sub_f16_sdwa v10, v10, v13 dst_sel:DWORD dst_unused:UNUSED_PAD src0_sel:WORD_1 src1_sel:WORD_1
	v_mul_f16_e32 v13, 0xba0c, v10
	v_fma_f16 v24, v8, s27, v13
	v_add_f16_e32 v24, v24, v25
	v_mul_f16_e32 v25, 0xb93d, v9
	v_fma_f16 v13, v8, s27, -v13
	v_add_f16_e32 v13, v13, v14
	v_fma_f16 v14, v23, s26, v25
	v_add_f16_e32 v14, v14, v15
	v_mul_f16_e32 v15, 0x3beb, v10
	v_add_f16_e32 v38, v38, v40
	v_fma_f16 v40, v23, s28, v25
	v_fma_f16 v25, v8, s21, v15
	v_add_f16_e32 v25, v25, v28
	v_mul_f16_e32 v28, 0xb08e, v9
	v_fma_f16 v15, v8, s21, -v15
	v_add_f16_e32 v15, v15, v21
	v_fma_f16 v21, v23, s22, v28
	v_add_f16_e32 v21, v21, v26
	v_mul_f16_e32 v26, 0xb853, v10
	v_add_f16_e32 v19, v40, v19
	v_fma_f16 v40, v23, s16, v28
	v_fma_f16 v28, v8, s13, v26
	v_add_f16_e32 v28, v28, v29
	v_mul_f16_e32 v29, 0x3abb, v9
	v_fma_f16 v26, v8, s13, -v26
	v_add_f16_e32 v33, v40, v33
	v_fma_f16 v40, v23, s15, v29
	v_add_f16_e32 v26, v26, v27
	v_fma_f16 v27, v23, s7, v29
	v_mul_f16_e32 v29, 0xb482, v10
	v_add_f16_e32 v27, v27, v30
	v_fma_f16 v30, v8, s30, v29
	v_add_f16_e32 v30, v30, v35
	v_mul_f16_e32 v35, 0xbbad, v9
	v_fma_f16 v29, v8, s30, -v29
	v_mul_f16_e32 v10, 0x3b47, v10
	v_add_f16_e32 v37, v40, v37
	v_fma_f16 v40, v23, s31, v35
	v_add_f16_e32 v29, v29, v34
	v_fma_f16 v34, v23, s29, v35
	v_fma_f16 v35, v8, s18, v10
	v_mul_f16_e32 v9, 0x36a6, v9
	v_fma_f16 v8, v8, s18, -v10
	v_add_f16_e32 v7, v8, v7
	v_fma_f16 v8, v23, s20, v9
	v_add_f16_e32 v34, v34, v36
	v_fma_f16 v36, v23, s17, v9
	v_add_f16_e32 v6, v8, v6
	v_add_f16_e32 v8, v12, v11
	v_add_f16_sdwa v9, v12, v11 dst_sel:DWORD dst_unused:UNUSED_PAD src0_sel:WORD_1 src1_sel:WORD_1
	v_sub_f16_e32 v10, v11, v12
	v_sub_f16_sdwa v11, v11, v12 dst_sel:DWORD dst_unused:UNUSED_PAD src0_sel:WORD_1 src1_sel:WORD_1
	v_mul_f16_e32 v12, 0xb482, v11
	v_fma_f16 v23, v8, s30, v12
	v_add_f16_e32 v23, v23, v24
	v_mul_f16_e32 v24, 0xbbad, v9
	v_fma_f16 v12, v8, s30, -v12
	v_add_f16_e32 v12, v12, v13
	v_fma_f16 v13, v10, s29, v24
	v_add_f16_e32 v13, v13, v14
	v_mul_f16_e32 v14, 0x3853, v11
	v_add_f16_e32 v35, v35, v38
	v_fma_f16 v38, v10, s31, v24
	v_fma_f16 v24, v8, s13, v14
	v_add_f16_e32 v24, v24, v25
	v_mul_f16_e32 v25, 0x3abb, v9
	v_fma_f16 v14, v8, s13, -v14
	v_add_f16_e32 v14, v14, v15
	v_fma_f16 v15, v10, s15, v25
	v_add_f16_e32 v15, v15, v21
	v_mul_f16_e32 v21, 0xba0c, v11
	v_add_f16_e32 v19, v38, v19
	v_fma_f16 v38, v10, s7, v25
	;; [unrolled: 10-line block ×3, first 2 shown]
	v_fma_f16 v28, v8, s18, v27
	v_add_f16_e32 v28, v28, v30
	v_mul_f16_e32 v30, 0x36a6, v9
	v_fma_f16 v27, v8, s18, -v27
	v_mul_f16_e32 v11, 0xbbeb, v11
	v_add_f16_e32 v37, v38, v37
	v_fma_f16 v38, v10, s17, v30
	v_add_f16_e32 v27, v27, v29
	v_fma_f16 v29, v10, s20, v30
	v_fma_f16 v30, v8, s21, v11
	v_mul_f16_e32 v9, 0xb08e, v9
	v_fma_f16 v8, v8, s21, -v11
	v_add_f16_e32 v41, v45, v41
	v_add_f16_e32 v7, v8, v7
	v_fma_f16 v8, v10, s16, v9
	v_add_f16_e32 v41, v43, v41
	v_add_f16_e32 v39, v39, v42
	;; [unrolled: 1-line block ×3, first 2 shown]
	v_mul_u32_u24_sdwa v8, v5, s1 dst_sel:DWORD dst_unused:UNUSED_PAD src0_sel:WORD_1 src1_sel:DWORD
	v_add_f16_e32 v40, v40, v41
	v_add_f16_e32 v36, v36, v39
	;; [unrolled: 1-line block ×3, first 2 shown]
	v_fma_f16 v34, v10, s22, v9
	v_add3_u32 v8, 0, v8, v17
	v_pack_b32_f16 v9, v23, v19
	v_add_f16_e32 v38, v38, v40
	v_add_f16_e32 v30, v30, v35
	;; [unrolled: 1-line block ×3, first 2 shown]
	s_barrier
	ds_write2_b32 v8, v2, v9 offset1:11
	v_pack_b32_f16 v2, v24, v33
	v_pack_b32_f16 v9, v25, v37
	ds_write2_b32 v8, v2, v9 offset0:22 offset1:33
	v_pack_b32_f16 v2, v28, v38
	v_pack_b32_f16 v9, v30, v34
	ds_write2_b32 v8, v2, v9 offset0:44 offset1:55
	;; [unrolled: 3-line block ×4, first 2 shown]
	v_pack_b32_f16 v2, v12, v13
	ds_write_b32 v8, v2 offset:440
	v_mov_b32_e32 v2, 24
	v_mul_lo_u16_sdwa v2, v5, v2 dst_sel:DWORD dst_unused:UNUSED_PAD src0_sel:WORD_1 src1_sel:DWORD
	v_mul_lo_u16_sdwa v2, v2, v16 dst_sel:DWORD dst_unused:UNUSED_PAD src0_sel:BYTE_1 src1_sel:DWORD
	v_sub_u16_sdwa v2, v5, v2 dst_sel:DWORD dst_unused:UNUSED_PAD src0_sel:WORD_1 src1_sel:DWORD
	v_mov_b32_e32 v5, 10
	v_mul_u32_u24_sdwa v5, v2, v5 dst_sel:DWORD dst_unused:UNUSED_PAD src0_sel:BYTE_0 src1_sel:DWORD
	v_lshlrev_b32_e32 v5, 2, v5
	s_waitcnt lgkmcnt(0)
	s_barrier
	global_load_dwordx4 v[6:9], v5, s[24:25]
	global_load_dwordx4 v[10:13], v5, s[24:25] offset:16
	global_load_dwordx2 v[14:15], v5, s[24:25] offset:32
	ds_read2_b32 v[16:17], v31 offset1:121
	ds_read2_b32 v[18:19], v18 offset0:114 offset1:235
	ds_read2_b32 v[20:21], v20 offset0:86 offset1:207
	;; [unrolled: 1-line block ×4, first 2 shown]
	ds_read_u16 v5, v31 offset:2422
	ds_read_b32 v26, v31 offset:4840
	s_waitcnt lgkmcnt(6)
	v_lshrrev_b32_e32 v32, 16, v17
	s_waitcnt lgkmcnt(4)
	v_lshrrev_b32_e32 v27, 16, v20
	v_lshrrev_b32_e32 v28, 16, v21
	s_waitcnt lgkmcnt(2)
	v_lshrrev_b32_e32 v29, 16, v24
	;; [unrolled: 3-line block ×3, first 2 shown]
	s_mov_b32 s1, s19
	v_add_u32_sdwa v0, v0, v2 dst_sel:DWORD dst_unused:UNUSED_PAD src0_sel:DWORD src1_sel:BYTE_0
	v_mul_lo_u32 v2, v0, s6
	s_waitcnt vmcnt(2)
	v_mul_f16_sdwa v33, v6, v32 dst_sel:DWORD dst_unused:UNUSED_PAD src0_sel:WORD_1 src1_sel:DWORD
	v_fma_f16 v33, v6, v17, v33
	v_mul_f16_sdwa v17, v6, v17 dst_sel:DWORD dst_unused:UNUSED_PAD src0_sel:WORD_1 src1_sel:DWORD
	v_fma_f16 v6, v6, v32, -v17
	v_lshrrev_b32_e32 v17, 16, v18
	v_mul_f16_sdwa v32, v7, v17 dst_sel:DWORD dst_unused:UNUSED_PAD src0_sel:WORD_1 src1_sel:DWORD
	v_fma_f16 v32, v7, v18, v32
	v_mul_f16_sdwa v18, v7, v18 dst_sel:DWORD dst_unused:UNUSED_PAD src0_sel:WORD_1 src1_sel:DWORD
	v_fma_f16 v7, v7, v17, -v18
	v_lshrrev_b32_e32 v17, 16, v19
	;; [unrolled: 5-line block ×3, first 2 shown]
	v_mul_f16_sdwa v19, v9, v17 dst_sel:DWORD dst_unused:UNUSED_PAD src0_sel:WORD_1 src1_sel:DWORD
	v_fma_f16 v19, v9, v22, v19
	v_mul_f16_sdwa v22, v9, v22 dst_sel:DWORD dst_unused:UNUSED_PAD src0_sel:WORD_1 src1_sel:DWORD
	v_fma_f16 v9, v9, v17, -v22
	s_waitcnt vmcnt(1)
	v_mul_f16_sdwa v17, v5, v10 dst_sel:DWORD dst_unused:UNUSED_PAD src0_sel:DWORD src1_sel:WORD_1
	v_mul_f16_sdwa v22, v10, v23 dst_sel:DWORD dst_unused:UNUSED_PAD src0_sel:WORD_1 src1_sel:DWORD
	v_fma_f16 v17, v10, v23, v17
	v_fma_f16 v5, v5, v10, -v22
	v_mul_f16_sdwa v10, v27, v11 dst_sel:DWORD dst_unused:UNUSED_PAD src0_sel:DWORD src1_sel:WORD_1
	v_fma_f16 v10, v20, v11, v10
	v_mul_f16_sdwa v20, v20, v11 dst_sel:DWORD dst_unused:UNUSED_PAD src0_sel:DWORD src1_sel:WORD_1
	v_fma_f16 v11, v27, v11, -v20
	v_mul_f16_sdwa v20, v28, v12 dst_sel:DWORD dst_unused:UNUSED_PAD src0_sel:DWORD src1_sel:WORD_1
	v_fma_f16 v20, v21, v12, v20
	v_mul_f16_sdwa v21, v21, v12 dst_sel:DWORD dst_unused:UNUSED_PAD src0_sel:DWORD src1_sel:WORD_1
	v_fma_f16 v12, v28, v12, -v21
	v_mul_f16_sdwa v21, v29, v13 dst_sel:DWORD dst_unused:UNUSED_PAD src0_sel:DWORD src1_sel:WORD_1
	v_mul_f16_sdwa v22, v24, v13 dst_sel:DWORD dst_unused:UNUSED_PAD src0_sel:DWORD src1_sel:WORD_1
	v_fma_f16 v21, v24, v13, v21
	v_fma_f16 v13, v29, v13, -v22
	s_waitcnt vmcnt(0)
	v_mul_f16_sdwa v22, v30, v14 dst_sel:DWORD dst_unused:UNUSED_PAD src0_sel:DWORD src1_sel:WORD_1
	v_mul_f16_sdwa v23, v25, v14 dst_sel:DWORD dst_unused:UNUSED_PAD src0_sel:DWORD src1_sel:WORD_1
	v_fma_f16 v22, v25, v14, v22
	v_fma_f16 v14, v30, v14, -v23
	v_mul_f16_sdwa v23, v31, v15 dst_sel:DWORD dst_unused:UNUSED_PAD src0_sel:DWORD src1_sel:WORD_1
	v_mul_f16_sdwa v24, v26, v15 dst_sel:DWORD dst_unused:UNUSED_PAD src0_sel:DWORD src1_sel:WORD_1
	v_fma_f16 v23, v26, v15, v23
	v_fma_f16 v15, v31, v15, -v24
	v_add_f16_e32 v24, v33, v16
	v_add_f16_sdwa v25, v6, v16 dst_sel:DWORD dst_unused:UNUSED_PAD src0_sel:DWORD src1_sel:WORD_1
	v_add_f16_e32 v24, v24, v32
	v_add_f16_e32 v25, v25, v7
	;; [unrolled: 1-line block ×17, first 2 shown]
	v_add_f16_sdwa v25, v25, v15 dst_sel:WORD_1 dst_unused:UNUSED_PAD src0_sel:DWORD src1_sel:DWORD
	v_add_f16_e32 v26, v6, v15
	v_sub_f16_e32 v6, v6, v15
	v_or_b32_e32 v24, v25, v24
	v_add_f16_e32 v25, v33, v23
	v_sub_f16_e32 v23, v33, v23
	v_mul_f16_e32 v15, 0xb853, v6
	v_mul_f16_e32 v28, 0x3abb, v26
	;; [unrolled: 1-line block ×10, first 2 shown]
	v_fma_f16 v27, v25, s13, v15
	v_fma_f16 v29, v23, s15, v28
	v_fma_f16 v15, v25, s13, -v15
	v_fma_f16 v28, v23, s7, v28
	v_fma_f16 v31, v25, s18, v30
	v_fma_f16 v34, v23, s20, v33
	v_fma_f16 v30, v25, s18, -v30
	v_fma_f16 v33, v23, s17, v33
	;; [unrolled: 4-line block ×5, first 2 shown]
	v_add_f16_e32 v25, v7, v14
	v_sub_f16_e32 v7, v7, v14
	v_add_f16_e32 v27, v27, v16
	v_add_f16_sdwa v29, v29, v16 dst_sel:DWORD dst_unused:UNUSED_PAD src0_sel:DWORD src1_sel:WORD_1
	v_add_f16_e32 v15, v15, v16
	v_add_f16_sdwa v28, v28, v16 dst_sel:DWORD dst_unused:UNUSED_PAD src0_sel:DWORD src1_sel:WORD_1
	;; [unrolled: 2-line block ×10, first 2 shown]
	v_add_f16_e32 v23, v32, v22
	v_mul_f16_e32 v14, 0xbb47, v7
	v_fma_f16 v26, v23, s18, v14
	v_sub_f16_e32 v22, v32, v22
	v_add_f16_e32 v26, v26, v27
	v_mul_f16_e32 v27, 0x36a6, v25
	v_fma_f16 v14, v23, s18, -v14
	v_fma_f16 v32, v22, s20, v27
	v_add_f16_e32 v14, v14, v15
	v_fma_f16 v15, v22, s17, v27
	v_mul_f16_e32 v27, 0xba0c, v7
	v_add_f16_e32 v15, v15, v28
	v_fma_f16 v28, v23, s27, v27
	v_add_f16_e32 v28, v28, v31
	v_mul_f16_e32 v31, 0xb93d, v25
	v_fma_f16 v27, v23, s27, -v27
	v_add_f16_e32 v29, v32, v29
	v_fma_f16 v32, v22, s28, v31
	v_add_f16_e32 v27, v27, v30
	v_fma_f16 v30, v22, s26, v31
	v_mul_f16_e32 v31, 0x3482, v7
	v_add_f16_e32 v32, v32, v34
	v_add_f16_e32 v30, v30, v33
	v_fma_f16 v33, v23, s30, v31
	v_mul_f16_e32 v34, 0xbbad, v25
	v_fma_f16 v31, v23, s30, -v31
	v_add_f16_e32 v33, v33, v36
	v_fma_f16 v36, v22, s29, v34
	v_add_f16_e32 v31, v31, v35
	v_fma_f16 v34, v22, s31, v34
	v_mul_f16_e32 v35, 0x3beb, v7
	v_add_f16_e32 v36, v36, v38
	v_add_f16_e32 v34, v34, v37
	v_fma_f16 v37, v23, s21, v35
	v_mul_f16_e32 v38, 0xb08e, v25
	v_fma_f16 v35, v23, s21, -v35
	v_mul_f16_e32 v7, 0x3853, v7
	v_add_f16_e32 v37, v37, v40
	v_fma_f16 v40, v22, s16, v38
	v_add_f16_e32 v35, v35, v39
	v_fma_f16 v38, v22, s22, v38
	v_fma_f16 v39, v23, s13, v7
	v_mul_f16_e32 v25, 0x3abb, v25
	v_fma_f16 v7, v23, s13, -v7
	v_add_f16_e32 v38, v38, v41
	v_fma_f16 v41, v22, s7, v25
	v_add_f16_e32 v6, v7, v6
	v_fma_f16 v7, v22, s15, v25
	v_add_f16_e32 v22, v8, v13
	v_sub_f16_e32 v8, v8, v13
	v_add_f16_e32 v7, v7, v16
	v_add_f16_e32 v16, v18, v21
	v_mul_f16_e32 v13, 0xbbeb, v8
	v_sub_f16_e32 v18, v18, v21
	v_fma_f16 v21, v16, s21, v13
	v_mul_f16_e32 v23, 0xb08e, v22
	v_fma_f16 v13, v16, s21, -v13
	v_add_f16_e32 v13, v13, v14
	v_fma_f16 v14, v18, s16, v23
	v_add_f16_e32 v14, v14, v15
	v_mul_f16_e32 v15, 0x3482, v8
	v_fma_f16 v25, v18, s22, v23
	v_fma_f16 v23, v16, s30, v15
	v_fma_f16 v15, v16, s30, -v15
	v_add_f16_e32 v21, v21, v26
	v_mul_f16_e32 v26, 0xbbad, v22
	v_add_f16_e32 v15, v15, v27
	v_mul_f16_e32 v27, 0x3b47, v8
	v_add_f16_e32 v25, v25, v29
	v_add_f16_e32 v23, v23, v28
	v_fma_f16 v28, v18, s29, v26
	v_fma_f16 v26, v18, s31, v26
	;; [unrolled: 1-line block ×3, first 2 shown]
	v_fma_f16 v27, v16, s18, -v27
	v_add_f16_e32 v26, v26, v30
	v_mul_f16_e32 v30, 0x36a6, v22
	v_add_f16_e32 v27, v27, v31
	v_mul_f16_e32 v31, 0xb853, v8
	v_add_f16_e32 v28, v28, v32
	v_add_f16_e32 v29, v29, v33
	v_fma_f16 v32, v18, s17, v30
	v_fma_f16 v30, v18, s20, v30
	;; [unrolled: 1-line block ×3, first 2 shown]
	v_fma_f16 v31, v16, s13, -v31
	v_mul_f16_e32 v8, 0xba0c, v8
	v_add_f16_e32 v30, v30, v34
	v_mul_f16_e32 v34, 0x3abb, v22
	v_add_f16_e32 v31, v31, v35
	v_fma_f16 v35, v16, s27, v8
	v_mul_f16_e32 v22, 0xb93d, v22
	v_fma_f16 v8, v16, s27, -v8
	v_add_f16_e32 v6, v8, v6
	v_fma_f16 v8, v18, s26, v22
	v_add_f16_e32 v16, v9, v12
	v_sub_f16_e32 v9, v9, v12
	v_add_f16_e32 v7, v8, v7
	v_add_f16_e32 v8, v19, v20
	v_mul_f16_e32 v12, 0xba0c, v9
	v_add_f16_e32 v32, v32, v36
	v_add_f16_e32 v33, v33, v37
	v_fma_f16 v36, v18, s15, v34
	v_fma_f16 v34, v18, s7, v34
	;; [unrolled: 1-line block ×3, first 2 shown]
	v_sub_f16_e32 v18, v19, v20
	v_fma_f16 v19, v8, s27, v12
	v_mul_f16_e32 v20, 0xb93d, v16
	v_fma_f16 v12, v8, s27, -v12
	v_add_f16_e32 v12, v12, v13
	v_fma_f16 v13, v18, s26, v20
	v_add_f16_e32 v13, v13, v14
	v_mul_f16_e32 v14, 0x3beb, v9
	v_add_f16_e32 v19, v19, v21
	v_fma_f16 v21, v18, s28, v20
	v_fma_f16 v20, v8, s21, v14
	v_mul_f16_e32 v22, 0xb08e, v16
	v_fma_f16 v14, v8, s21, -v14
	v_add_f16_e32 v20, v20, v23
	v_fma_f16 v23, v18, s16, v22
	v_add_f16_e32 v14, v14, v15
	v_fma_f16 v15, v18, s22, v22
	v_mul_f16_e32 v22, 0xb853, v9
	v_add_f16_e32 v21, v21, v25
	v_fma_f16 v25, v8, s13, v22
	v_fma_f16 v22, v8, s13, -v22
	v_add_f16_e32 v15, v15, v26
	v_mul_f16_e32 v26, 0x3abb, v16
	v_add_f16_e32 v22, v22, v27
	v_mul_f16_e32 v27, 0xb482, v9
	v_add_f16_e32 v23, v23, v28
	v_add_f16_e32 v25, v25, v29
	v_fma_f16 v28, v18, s15, v26
	v_fma_f16 v26, v18, s7, v26
	;; [unrolled: 1-line block ×3, first 2 shown]
	v_fma_f16 v27, v8, s30, -v27
	v_mul_f16_e32 v9, 0x3b47, v9
	v_add_f16_e32 v26, v26, v30
	v_mul_f16_e32 v30, 0xbbad, v16
	v_add_f16_e32 v27, v27, v31
	v_fma_f16 v31, v8, s18, v9
	v_mul_f16_e32 v16, 0x36a6, v16
	v_fma_f16 v8, v8, s18, -v9
	v_add_f16_e32 v6, v8, v6
	v_fma_f16 v8, v18, s20, v16
	v_add_f16_e32 v9, v5, v11
	v_sub_f16_e32 v5, v5, v11
	v_add_f16_e32 v7, v8, v7
	v_add_f16_e32 v8, v17, v10
	v_mul_f16_e32 v11, 0xb482, v5
	v_add_f16_e32 v29, v29, v33
	v_fma_f16 v33, v18, s17, v16
	v_sub_f16_e32 v10, v17, v10
	v_fma_f16 v16, v8, s30, v11
	v_mul_f16_e32 v17, 0xbbad, v9
	v_fma_f16 v11, v8, s30, -v11
	v_add_f16_e32 v11, v11, v12
	v_fma_f16 v12, v10, s29, v17
	v_add_f16_e32 v12, v12, v13
	v_mul_f16_e32 v13, 0x3853, v5
	v_add_f16_e32 v28, v28, v32
	v_fma_f16 v32, v18, s31, v30
	v_fma_f16 v30, v18, s29, v30
	v_add_f16_e32 v16, v16, v19
	v_fma_f16 v18, v10, s31, v17
	v_fma_f16 v17, v8, s13, v13
	v_mul_f16_e32 v19, 0x3abb, v9
	v_fma_f16 v13, v8, s13, -v13
	v_add_f16_e32 v13, v13, v14
	v_fma_f16 v14, v10, s15, v19
	v_add_f16_e32 v14, v14, v15
	v_mul_f16_e32 v15, 0xba0c, v5
	v_add_f16_e32 v17, v17, v20
	v_fma_f16 v20, v10, s7, v19
	v_fma_f16 v19, v8, s27, v15
	v_fma_f16 v15, v8, s27, -v15
	v_add_f16_e32 v18, v18, v21
	v_mul_f16_e32 v21, 0xb93d, v9
	v_add_f16_e32 v15, v15, v22
	v_mul_f16_e32 v22, 0x3b47, v5
	v_add_f16_e32 v20, v20, v23
	v_add_f16_e32 v19, v19, v25
	v_fma_f16 v23, v10, s28, v21
	v_fma_f16 v21, v10, s26, v21
	;; [unrolled: 1-line block ×3, first 2 shown]
	v_fma_f16 v22, v8, s18, -v22
	v_mul_f16_e32 v5, 0xbbeb, v5
	v_add_f16_e32 v21, v21, v26
	v_mul_f16_e32 v26, 0x36a6, v9
	v_add_f16_e32 v22, v22, v27
	v_fma_f16 v27, v8, s21, v5
	v_mul_f16_e32 v9, 0xb08e, v9
	v_fma_f16 v5, v8, s21, -v5
	v_add_f16_e32 v6, v5, v6
	v_fma_f16 v5, v10, s16, v9
	v_add_f16_e32 v7, v5, v7
	v_mov_b32_e32 v5, v3
	v_lshl_add_u64 v[4:5], s[0:1], 0, v[4:5]
	v_add_f16_e32 v25, v25, v29
	v_fma_f16 v29, v10, s22, v9
	v_mul_lo_u32 v8, v5, s4
	v_mul_lo_u32 v9, v4, s5
	v_mad_u64_u32 v[4:5], s[0:1], v4, s4, 0
	s_lshl_b64 s[0:1], s[2:3], 2
	s_add_u32 s2, s10, s0
	s_addc_u32 s3, s11, s1
	s_lshl_b64 s[0:1], s[8:9], 2
	s_add_u32 s0, s2, s0
	v_add3_u32 v5, v5, v9, v8
	s_addc_u32 s1, s3, s1
	v_lshl_add_u64 v[0:1], v[4:5], 2, s[0:1]
	s_mul_i32 s0, s6, 11
	v_add_f16_e32 v40, v40, v42
	v_lshl_add_u64 v[4:5], v[2:3], 2, v[0:1]
	v_add_u32_e32 v2, s0, v2
	v_add_f16_e32 v39, v39, v43
	v_add_f16_e32 v41, v41, v44
	;; [unrolled: 1-line block ×3, first 2 shown]
	global_store_dword v[4:5], v24, off
	v_lshl_add_u64 v[4:5], v[2:3], 2, v[0:1]
	v_pack_b32_f16 v8, v16, v18
	v_add_u32_e32 v2, s0, v2
	v_add_f16_e32 v35, v35, v39
	v_add_f16_e32 v37, v37, v41
	;; [unrolled: 1-line block ×4, first 2 shown]
	v_fma_f16 v28, v10, s17, v26
	global_store_dword v[4:5], v8, off
	v_lshl_add_u64 v[4:5], v[2:3], 2, v[0:1]
	v_pack_b32_f16 v8, v17, v20
	v_add_u32_e32 v2, s0, v2
	v_add_f16_e32 v31, v31, v35
	v_add_f16_e32 v33, v33, v37
	;; [unrolled: 1-line block ×3, first 2 shown]
	global_store_dword v[4:5], v8, off
	v_lshl_add_u64 v[4:5], v[2:3], 2, v[0:1]
	v_pack_b32_f16 v8, v19, v23
	v_add_u32_e32 v2, s0, v2
	v_add_f16_e32 v34, v34, v38
	v_add_f16_e32 v27, v27, v31
	;; [unrolled: 1-line block ×3, first 2 shown]
	global_store_dword v[4:5], v8, off
	v_lshl_add_u64 v[4:5], v[2:3], 2, v[0:1]
	v_pack_b32_f16 v8, v25, v28
	v_add_u32_e32 v2, s0, v2
	v_add_f16_e32 v30, v30, v34
	v_fma_f16 v26, v10, s20, v26
	global_store_dword v[4:5], v8, off
	v_lshl_add_u64 v[4:5], v[2:3], 2, v[0:1]
	v_pack_b32_f16 v8, v27, v29
	v_add_u32_e32 v2, s0, v2
	v_add_f16_e32 v26, v26, v30
	global_store_dword v[4:5], v8, off
	v_lshl_add_u64 v[4:5], v[2:3], 2, v[0:1]
	v_pack_b32_f16 v6, v6, v7
	v_add_u32_e32 v2, s0, v2
	global_store_dword v[4:5], v6, off
	v_lshl_add_u64 v[4:5], v[2:3], 2, v[0:1]
	v_pack_b32_f16 v6, v22, v26
	v_add_u32_e32 v2, s0, v2
	;; [unrolled: 4-line block ×3, first 2 shown]
	global_store_dword v[4:5], v6, off
	v_lshl_add_u64 v[4:5], v[2:3], 2, v[0:1]
	v_add_u32_e32 v2, s0, v2
	v_pack_b32_f16 v6, v13, v14
	v_lshl_add_u64 v[0:1], v[2:3], 2, v[0:1]
	v_pack_b32_f16 v2, v11, v12
	global_store_dword v[4:5], v6, off
	global_store_dword v[0:1], v2, off
	s_endpgm
	.section	.rodata,"a",@progbits
	.p2align	6, 0x0
	.amdhsa_kernel fft_rtc_back_len121_factors_11_11_wgs_121_tpt_11_half_op_CI_CI_sbrc_xy_z_aligned_dirReg
		.amdhsa_group_segment_fixed_size 0
		.amdhsa_private_segment_fixed_size 0
		.amdhsa_kernarg_size 104
		.amdhsa_user_sgpr_count 2
		.amdhsa_user_sgpr_dispatch_ptr 0
		.amdhsa_user_sgpr_queue_ptr 0
		.amdhsa_user_sgpr_kernarg_segment_ptr 1
		.amdhsa_user_sgpr_dispatch_id 0
		.amdhsa_user_sgpr_kernarg_preload_length 0
		.amdhsa_user_sgpr_kernarg_preload_offset 0
		.amdhsa_user_sgpr_private_segment_size 0
		.amdhsa_uses_dynamic_stack 0
		.amdhsa_enable_private_segment 0
		.amdhsa_system_sgpr_workgroup_id_x 1
		.amdhsa_system_sgpr_workgroup_id_y 0
		.amdhsa_system_sgpr_workgroup_id_z 0
		.amdhsa_system_sgpr_workgroup_info 0
		.amdhsa_system_vgpr_workitem_id 0
		.amdhsa_next_free_vgpr 46
		.amdhsa_next_free_sgpr 32
		.amdhsa_accum_offset 48
		.amdhsa_reserve_vcc 1
		.amdhsa_float_round_mode_32 0
		.amdhsa_float_round_mode_16_64 0
		.amdhsa_float_denorm_mode_32 3
		.amdhsa_float_denorm_mode_16_64 3
		.amdhsa_dx10_clamp 1
		.amdhsa_ieee_mode 1
		.amdhsa_fp16_overflow 0
		.amdhsa_tg_split 0
		.amdhsa_exception_fp_ieee_invalid_op 0
		.amdhsa_exception_fp_denorm_src 0
		.amdhsa_exception_fp_ieee_div_zero 0
		.amdhsa_exception_fp_ieee_overflow 0
		.amdhsa_exception_fp_ieee_underflow 0
		.amdhsa_exception_fp_ieee_inexact 0
		.amdhsa_exception_int_div_zero 0
	.end_amdhsa_kernel
	.text
.Lfunc_end0:
	.size	fft_rtc_back_len121_factors_11_11_wgs_121_tpt_11_half_op_CI_CI_sbrc_xy_z_aligned_dirReg, .Lfunc_end0-fft_rtc_back_len121_factors_11_11_wgs_121_tpt_11_half_op_CI_CI_sbrc_xy_z_aligned_dirReg
                                        ; -- End function
	.section	.AMDGPU.csdata,"",@progbits
; Kernel info:
; codeLenInByte = 5952
; NumSgprs: 38
; NumVgprs: 46
; NumAgprs: 0
; TotalNumVgprs: 46
; ScratchSize: 0
; MemoryBound: 0
; FloatMode: 240
; IeeeMode: 1
; LDSByteSize: 0 bytes/workgroup (compile time only)
; SGPRBlocks: 4
; VGPRBlocks: 5
; NumSGPRsForWavesPerEU: 38
; NumVGPRsForWavesPerEU: 46
; AccumOffset: 48
; Occupancy: 8
; WaveLimiterHint : 1
; COMPUTE_PGM_RSRC2:SCRATCH_EN: 0
; COMPUTE_PGM_RSRC2:USER_SGPR: 2
; COMPUTE_PGM_RSRC2:TRAP_HANDLER: 0
; COMPUTE_PGM_RSRC2:TGID_X_EN: 1
; COMPUTE_PGM_RSRC2:TGID_Y_EN: 0
; COMPUTE_PGM_RSRC2:TGID_Z_EN: 0
; COMPUTE_PGM_RSRC2:TIDIG_COMP_CNT: 0
; COMPUTE_PGM_RSRC3_GFX90A:ACCUM_OFFSET: 11
; COMPUTE_PGM_RSRC3_GFX90A:TG_SPLIT: 0
	.text
	.p2alignl 6, 3212836864
	.fill 256, 4, 3212836864
	.type	__hip_cuid_9eaf70e057772634,@object ; @__hip_cuid_9eaf70e057772634
	.section	.bss,"aw",@nobits
	.globl	__hip_cuid_9eaf70e057772634
__hip_cuid_9eaf70e057772634:
	.byte	0                               ; 0x0
	.size	__hip_cuid_9eaf70e057772634, 1

	.ident	"AMD clang version 19.0.0git (https://github.com/RadeonOpenCompute/llvm-project roc-6.4.0 25133 c7fe45cf4b819c5991fe208aaa96edf142730f1d)"
	.section	".note.GNU-stack","",@progbits
	.addrsig
	.addrsig_sym __hip_cuid_9eaf70e057772634
	.amdgpu_metadata
---
amdhsa.kernels:
  - .agpr_count:     0
    .args:
      - .actual_access:  read_only
        .address_space:  global
        .offset:         0
        .size:           8
        .value_kind:     global_buffer
      - .offset:         8
        .size:           8
        .value_kind:     by_value
      - .actual_access:  read_only
        .address_space:  global
        .offset:         16
        .size:           8
        .value_kind:     global_buffer
      - .actual_access:  read_only
        .address_space:  global
        .offset:         24
        .size:           8
        .value_kind:     global_buffer
      - .actual_access:  read_only
        .address_space:  global
        .offset:         32
        .size:           8
        .value_kind:     global_buffer
      - .offset:         40
        .size:           8
        .value_kind:     by_value
      - .actual_access:  read_only
        .address_space:  global
        .offset:         48
        .size:           8
        .value_kind:     global_buffer
      - .actual_access:  read_only
        .address_space:  global
        .offset:         56
        .size:           8
        .value_kind:     global_buffer
      - .offset:         64
        .size:           4
        .value_kind:     by_value
      - .actual_access:  read_only
        .address_space:  global
        .offset:         72
        .size:           8
        .value_kind:     global_buffer
      - .actual_access:  read_only
        .address_space:  global
        .offset:         80
        .size:           8
        .value_kind:     global_buffer
      - .actual_access:  read_only
        .address_space:  global
        .offset:         88
        .size:           8
        .value_kind:     global_buffer
      - .actual_access:  write_only
        .address_space:  global
        .offset:         96
        .size:           8
        .value_kind:     global_buffer
    .group_segment_fixed_size: 0
    .kernarg_segment_align: 8
    .kernarg_segment_size: 104
    .language:       OpenCL C
    .language_version:
      - 2
      - 0
    .max_flat_workgroup_size: 121
    .name:           fft_rtc_back_len121_factors_11_11_wgs_121_tpt_11_half_op_CI_CI_sbrc_xy_z_aligned_dirReg
    .private_segment_fixed_size: 0
    .sgpr_count:     38
    .sgpr_spill_count: 0
    .symbol:         fft_rtc_back_len121_factors_11_11_wgs_121_tpt_11_half_op_CI_CI_sbrc_xy_z_aligned_dirReg.kd
    .uniform_work_group_size: 1
    .uses_dynamic_stack: false
    .vgpr_count:     46
    .vgpr_spill_count: 0
    .wavefront_size: 64
amdhsa.target:   amdgcn-amd-amdhsa--gfx950
amdhsa.version:
  - 1
  - 2
...

	.end_amdgpu_metadata
